;; amdgpu-corpus repo=ROCm/rocFFT kind=compiled arch=gfx1030 opt=O3
	.text
	.amdgcn_target "amdgcn-amd-amdhsa--gfx1030"
	.amdhsa_code_object_version 6
	.protected	fft_rtc_back_len77_factors_7_11_wgs_253_tpt_11_halfLds_dp_ip_CI_sbrr_dirReg ; -- Begin function fft_rtc_back_len77_factors_7_11_wgs_253_tpt_11_halfLds_dp_ip_CI_sbrr_dirReg
	.globl	fft_rtc_back_len77_factors_7_11_wgs_253_tpt_11_halfLds_dp_ip_CI_sbrr_dirReg
	.p2align	8
	.type	fft_rtc_back_len77_factors_7_11_wgs_253_tpt_11_halfLds_dp_ip_CI_sbrr_dirReg,@function
fft_rtc_back_len77_factors_7_11_wgs_253_tpt_11_halfLds_dp_ip_CI_sbrr_dirReg: ; @fft_rtc_back_len77_factors_7_11_wgs_253_tpt_11_halfLds_dp_ip_CI_sbrr_dirReg
; %bb.0:
	s_clause 0x1
	s_load_dwordx2 s[14:15], s[4:5], 0x18
	s_load_dwordx4 s[8:11], s[4:5], 0x0
	v_mul_u32_u24_e32 v1, 0x1746, v0
	v_mov_b32_e32 v3, 0
	v_mov_b32_e32 v5, 0
	v_mov_b32_e32 v6, 0
	s_load_dwordx2 s[12:13], s[4:5], 0x50
	s_waitcnt lgkmcnt(0)
	s_load_dwordx2 s[2:3], s[14:15], 0x0
	v_lshrrev_b32_e32 v1, 16, v1
	v_cmp_lt_u64_e64 s0, s[10:11], 2
	v_mad_u64_u32 v[1:2], null, s6, 23, v[1:2]
	v_mov_b32_e32 v2, v3
	s_and_b32 vcc_lo, exec_lo, s0
	v_mov_b32_e32 v10, v2
	v_mov_b32_e32 v9, v1
	s_cbranch_vccnz .LBB0_8
; %bb.1:
	s_load_dwordx2 s[0:1], s[4:5], 0x10
	v_mov_b32_e32 v5, 0
	v_mov_b32_e32 v8, v2
	s_add_u32 s6, s14, 8
	v_mov_b32_e32 v6, 0
	v_mov_b32_e32 v7, v1
	s_addc_u32 s7, s15, 0
	s_mov_b64 s[18:19], 1
	s_waitcnt lgkmcnt(0)
	s_add_u32 s16, s0, 8
	s_addc_u32 s17, s1, 0
.LBB0_2:                                ; =>This Inner Loop Header: Depth=1
	s_load_dwordx2 s[20:21], s[16:17], 0x0
                                        ; implicit-def: $vgpr9_vgpr10
	s_mov_b32 s0, exec_lo
	s_waitcnt lgkmcnt(0)
	v_or_b32_e32 v4, s21, v8
	v_cmpx_ne_u64_e32 0, v[3:4]
	s_xor_b32 s1, exec_lo, s0
	s_cbranch_execz .LBB0_4
; %bb.3:                                ;   in Loop: Header=BB0_2 Depth=1
	v_cvt_f32_u32_e32 v2, s20
	v_cvt_f32_u32_e32 v4, s21
	s_sub_u32 s0, 0, s20
	s_subb_u32 s22, 0, s21
	v_fmac_f32_e32 v2, 0x4f800000, v4
	v_rcp_f32_e32 v2, v2
	v_mul_f32_e32 v2, 0x5f7ffffc, v2
	v_mul_f32_e32 v4, 0x2f800000, v2
	v_trunc_f32_e32 v4, v4
	v_fmac_f32_e32 v2, 0xcf800000, v4
	v_cvt_u32_f32_e32 v4, v4
	v_cvt_u32_f32_e32 v2, v2
	v_mul_lo_u32 v9, s0, v4
	v_mul_hi_u32 v10, s0, v2
	v_mul_lo_u32 v11, s22, v2
	v_add_nc_u32_e32 v9, v10, v9
	v_mul_lo_u32 v10, s0, v2
	v_add_nc_u32_e32 v9, v9, v11
	v_mul_hi_u32 v11, v2, v10
	v_mul_lo_u32 v12, v2, v9
	v_mul_hi_u32 v13, v2, v9
	v_mul_hi_u32 v14, v4, v10
	v_mul_lo_u32 v10, v4, v10
	v_mul_hi_u32 v15, v4, v9
	v_mul_lo_u32 v9, v4, v9
	v_add_co_u32 v11, vcc_lo, v11, v12
	v_add_co_ci_u32_e32 v12, vcc_lo, 0, v13, vcc_lo
	v_add_co_u32 v10, vcc_lo, v11, v10
	v_add_co_ci_u32_e32 v10, vcc_lo, v12, v14, vcc_lo
	v_add_co_ci_u32_e32 v11, vcc_lo, 0, v15, vcc_lo
	v_add_co_u32 v9, vcc_lo, v10, v9
	v_add_co_ci_u32_e32 v10, vcc_lo, 0, v11, vcc_lo
	v_add_co_u32 v2, vcc_lo, v2, v9
	v_add_co_ci_u32_e32 v4, vcc_lo, v4, v10, vcc_lo
	v_mul_hi_u32 v9, s0, v2
	v_mul_lo_u32 v11, s22, v2
	v_mul_lo_u32 v10, s0, v4
	v_add_nc_u32_e32 v9, v9, v10
	v_mul_lo_u32 v10, s0, v2
	v_add_nc_u32_e32 v9, v9, v11
	v_mul_hi_u32 v11, v2, v10
	v_mul_lo_u32 v12, v2, v9
	v_mul_hi_u32 v13, v2, v9
	v_mul_hi_u32 v14, v4, v10
	v_mul_lo_u32 v10, v4, v10
	v_mul_hi_u32 v15, v4, v9
	v_mul_lo_u32 v9, v4, v9
	v_add_co_u32 v11, vcc_lo, v11, v12
	v_add_co_ci_u32_e32 v12, vcc_lo, 0, v13, vcc_lo
	v_add_co_u32 v10, vcc_lo, v11, v10
	v_add_co_ci_u32_e32 v10, vcc_lo, v12, v14, vcc_lo
	v_add_co_ci_u32_e32 v11, vcc_lo, 0, v15, vcc_lo
	v_add_co_u32 v9, vcc_lo, v10, v9
	v_add_co_ci_u32_e32 v10, vcc_lo, 0, v11, vcc_lo
	v_add_co_u32 v2, vcc_lo, v2, v9
	v_add_co_ci_u32_e32 v4, vcc_lo, v4, v10, vcc_lo
	v_mul_hi_u32 v15, v7, v2
	v_mad_u64_u32 v[11:12], null, v8, v2, 0
	v_mad_u64_u32 v[9:10], null, v7, v4, 0
	v_mad_u64_u32 v[13:14], null, v8, v4, 0
	v_add_co_u32 v2, vcc_lo, v15, v9
	v_add_co_ci_u32_e32 v4, vcc_lo, 0, v10, vcc_lo
	v_add_co_u32 v2, vcc_lo, v2, v11
	v_add_co_ci_u32_e32 v2, vcc_lo, v4, v12, vcc_lo
	v_add_co_ci_u32_e32 v4, vcc_lo, 0, v14, vcc_lo
	v_add_co_u32 v2, vcc_lo, v2, v13
	v_add_co_ci_u32_e32 v4, vcc_lo, 0, v4, vcc_lo
	v_mul_lo_u32 v11, s21, v2
	v_mad_u64_u32 v[9:10], null, s20, v2, 0
	v_mul_lo_u32 v12, s20, v4
	v_sub_co_u32 v9, vcc_lo, v7, v9
	v_add3_u32 v10, v10, v12, v11
	v_sub_nc_u32_e32 v11, v8, v10
	v_subrev_co_ci_u32_e64 v11, s0, s21, v11, vcc_lo
	v_add_co_u32 v12, s0, v2, 2
	v_add_co_ci_u32_e64 v13, s0, 0, v4, s0
	v_sub_co_u32 v14, s0, v9, s20
	v_sub_co_ci_u32_e32 v10, vcc_lo, v8, v10, vcc_lo
	v_subrev_co_ci_u32_e64 v11, s0, 0, v11, s0
	v_cmp_le_u32_e32 vcc_lo, s20, v14
	v_cmp_eq_u32_e64 s0, s21, v10
	v_cndmask_b32_e64 v14, 0, -1, vcc_lo
	v_cmp_le_u32_e32 vcc_lo, s21, v11
	v_cndmask_b32_e64 v15, 0, -1, vcc_lo
	v_cmp_le_u32_e32 vcc_lo, s20, v9
	;; [unrolled: 2-line block ×3, first 2 shown]
	v_cndmask_b32_e64 v16, 0, -1, vcc_lo
	v_cmp_eq_u32_e32 vcc_lo, s21, v11
	v_cndmask_b32_e64 v9, v16, v9, s0
	v_cndmask_b32_e32 v11, v15, v14, vcc_lo
	v_add_co_u32 v14, vcc_lo, v2, 1
	v_add_co_ci_u32_e32 v15, vcc_lo, 0, v4, vcc_lo
	v_cmp_ne_u32_e32 vcc_lo, 0, v11
	v_cndmask_b32_e32 v10, v15, v13, vcc_lo
	v_cndmask_b32_e32 v11, v14, v12, vcc_lo
	v_cmp_ne_u32_e32 vcc_lo, 0, v9
	v_cndmask_b32_e32 v10, v4, v10, vcc_lo
	v_cndmask_b32_e32 v9, v2, v11, vcc_lo
.LBB0_4:                                ;   in Loop: Header=BB0_2 Depth=1
	s_andn2_saveexec_b32 s0, s1
	s_cbranch_execz .LBB0_6
; %bb.5:                                ;   in Loop: Header=BB0_2 Depth=1
	v_cvt_f32_u32_e32 v2, s20
	s_sub_i32 s1, 0, s20
	v_rcp_iflag_f32_e32 v2, v2
	v_mul_f32_e32 v2, 0x4f7ffffe, v2
	v_cvt_u32_f32_e32 v2, v2
	v_mul_lo_u32 v4, s1, v2
	v_mul_hi_u32 v4, v2, v4
	v_add_nc_u32_e32 v2, v2, v4
	v_mul_hi_u32 v2, v7, v2
	v_mul_lo_u32 v4, v2, s20
	v_add_nc_u32_e32 v9, 1, v2
	v_sub_nc_u32_e32 v4, v7, v4
	v_subrev_nc_u32_e32 v10, s20, v4
	v_cmp_le_u32_e32 vcc_lo, s20, v4
	v_cndmask_b32_e32 v4, v4, v10, vcc_lo
	v_cndmask_b32_e32 v2, v2, v9, vcc_lo
	v_mov_b32_e32 v10, v3
	v_cmp_le_u32_e32 vcc_lo, s20, v4
	v_add_nc_u32_e32 v9, 1, v2
	v_cndmask_b32_e32 v9, v2, v9, vcc_lo
.LBB0_6:                                ;   in Loop: Header=BB0_2 Depth=1
	s_or_b32 exec_lo, exec_lo, s0
	s_load_dwordx2 s[0:1], s[6:7], 0x0
	v_mul_lo_u32 v2, v10, s20
	v_mul_lo_u32 v4, v9, s21
	v_mad_u64_u32 v[11:12], null, v9, s20, 0
	s_add_u32 s18, s18, 1
	s_addc_u32 s19, s19, 0
	s_add_u32 s6, s6, 8
	s_addc_u32 s7, s7, 0
	s_add_u32 s16, s16, 8
	s_addc_u32 s17, s17, 0
	v_add3_u32 v2, v12, v4, v2
	v_sub_co_u32 v4, vcc_lo, v7, v11
	v_sub_co_ci_u32_e32 v2, vcc_lo, v8, v2, vcc_lo
	s_waitcnt lgkmcnt(0)
	v_mul_lo_u32 v7, s1, v4
	v_mul_lo_u32 v2, s0, v2
	v_mad_u64_u32 v[5:6], null, s0, v4, v[5:6]
	v_cmp_ge_u64_e64 s0, s[18:19], s[10:11]
	s_and_b32 vcc_lo, exec_lo, s0
	v_add3_u32 v6, v7, v6, v2
	s_cbranch_vccnz .LBB0_8
; %bb.7:                                ;   in Loop: Header=BB0_2 Depth=1
	v_mov_b32_e32 v7, v9
	v_mov_b32_e32 v8, v10
	s_branch .LBB0_2
.LBB0_8:
	s_lshl_b64 s[0:1], s[10:11], 3
                                        ; implicit-def: $vgpr20_vgpr21
                                        ; implicit-def: $vgpr32_vgpr33
                                        ; implicit-def: $vgpr24_vgpr25
                                        ; implicit-def: $vgpr28_vgpr29
                                        ; implicit-def: $vgpr36_vgpr37
                                        ; implicit-def: $vgpr16_vgpr17
                                        ; implicit-def: $vgpr12_vgpr13
	s_add_u32 s0, s14, s0
	s_addc_u32 s1, s15, s1
	s_load_dwordx2 s[0:1], s[0:1], 0x0
	s_load_dwordx2 s[4:5], s[4:5], 0x20
	s_waitcnt lgkmcnt(0)
	v_mul_lo_u32 v4, s0, v10
	v_mul_lo_u32 v7, s1, v9
	v_mad_u64_u32 v[2:3], null, s0, v9, v[5:6]
	v_mul_hi_u32 v5, 0x1745d175, v0
	v_cmp_gt_u64_e32 vcc_lo, s[4:5], v[9:10]
	v_add3_u32 v3, v7, v3, v4
	v_mul_u32_u24_e32 v4, 11, v5
	v_lshlrev_b64 v[84:85], 4, v[2:3]
	v_sub_nc_u32_e32 v88, v0, v4
	s_and_saveexec_b32 s1, vcc_lo
	s_cbranch_execz .LBB0_10
; %bb.9:
	v_add_nc_u32_e32 v8, 11, v88
	v_mad_u64_u32 v[2:3], null, s2, v88, 0
	v_add_nc_u32_e32 v10, 22, v88
	v_add_nc_u32_e32 v12, 33, v88
	v_mad_u64_u32 v[4:5], null, s2, v8, 0
	v_add_nc_u32_e32 v27, 55, v88
	v_add_co_u32 v25, s0, s12, v84
	v_mov_b32_e32 v0, v3
	v_mad_u64_u32 v[18:19], null, s2, v12, 0
	v_mov_b32_e32 v3, v5
	v_add_nc_u32_e32 v13, 44, v88
	v_mad_u64_u32 v[5:6], null, s3, v88, v[0:1]
	v_mad_u64_u32 v[6:7], null, s2, v10, 0
	;; [unrolled: 1-line block ×4, first 2 shown]
	v_mov_b32_e32 v3, v5
	v_add_nc_u32_e32 v28, 0x42, v88
	v_mov_b32_e32 v0, v7
	v_add_co_ci_u32_e64 v26, s0, s13, v85, s0
	v_mov_b32_e32 v5, v8
	v_lshlrev_b64 v[2:3], 4, v[2:3]
	v_mad_u64_u32 v[10:11], null, s3, v10, v[0:1]
	v_mov_b32_e32 v0, v19
	v_lshlrev_b64 v[4:5], 4, v[4:5]
	v_mad_u64_u32 v[8:9], null, s2, v13, 0
	v_add_co_u32 v2, s0, v25, v2
	v_mad_u64_u32 v[22:23], null, s3, v12, v[0:1]
	v_mad_u64_u32 v[23:24], null, s2, v28, 0
	v_add_co_ci_u32_e64 v3, s0, v26, v3, s0
	v_add_co_u32 v4, s0, v25, v4
	v_mov_b32_e32 v0, v21
	v_add_co_ci_u32_e64 v5, s0, v26, v5, s0
	v_mov_b32_e32 v7, v10
	v_mad_u64_u32 v[9:10], null, s3, v13, v[9:10]
	s_clause 0x1
	global_load_dwordx4 v[10:13], v[2:3], off
	global_load_dwordx4 v[14:17], v[4:5], off
	v_mov_b32_e32 v19, v22
	v_mad_u64_u32 v[4:5], null, s3, v27, v[0:1]
	v_mov_b32_e32 v0, v24
	v_lshlrev_b64 v[2:3], 4, v[6:7]
	v_lshlrev_b64 v[5:6], 4, v[18:19]
	;; [unrolled: 1-line block ×3, first 2 shown]
	v_mad_u64_u32 v[18:19], null, s3, v28, v[0:1]
	v_add_co_u32 v2, s0, v25, v2
	v_mov_b32_e32 v21, v4
	v_add_co_ci_u32_e64 v3, s0, v26, v3, s0
	v_add_co_u32 v4, s0, v25, v5
	v_mov_b32_e32 v24, v18
	v_add_co_ci_u32_e64 v5, s0, v26, v6, s0
	v_lshlrev_b64 v[19:20], 4, v[20:21]
	v_add_co_u32 v6, s0, v25, v7
	v_add_co_ci_u32_e64 v7, s0, v26, v8, s0
	v_lshlrev_b64 v[8:9], 4, v[23:24]
	v_add_co_u32 v18, s0, v25, v19
	v_add_co_ci_u32_e64 v19, s0, v26, v20, s0
	v_add_co_u32 v8, s0, v25, v8
	v_add_co_ci_u32_e64 v9, s0, v26, v9, s0
	s_clause 0x4
	global_load_dwordx4 v[34:37], v[2:3], off
	global_load_dwordx4 v[26:29], v[4:5], off
	;; [unrolled: 1-line block ×5, first 2 shown]
.LBB0_10:
	s_or_b32 exec_lo, exec_lo, s1
	s_waitcnt vmcnt(0)
	v_add_f64 v[2:3], v[18:19], v[14:15]
	v_add_f64 v[4:5], v[30:31], v[34:35]
	v_add_f64 v[6:7], v[36:37], -v[32:33]
	v_add_f64 v[8:9], v[22:23], v[26:27]
	v_add_f64 v[38:39], v[24:25], -v[28:29]
	v_add_f64 v[40:41], v[16:17], -v[20:21]
	s_mov_b32 s4, 0x37e14327
	s_mov_b32 s10, 0xe976ee23
	;; [unrolled: 1-line block ×17, first 2 shown]
	v_add_f64 v[42:43], v[4:5], v[2:3]
	s_mov_b32 s24, s22
	v_add_f64 v[44:45], v[2:3], -v[8:9]
	v_add_f64 v[46:47], v[38:39], -v[6:7]
	;; [unrolled: 1-line block ×3, first 2 shown]
	v_add_f64 v[6:7], v[38:39], v[6:7]
	v_add_f64 v[38:39], v[40:41], -v[38:39]
	v_add_f64 v[2:3], v[4:5], -v[2:3]
	s_mov_b32 s26, 0x37c3f68c
	s_mov_b32 s27, 0xbfdc38aa
	v_mul_hi_u32 v0, 0xb21642c9, v1
	v_cmp_gt_u32_e64 s0, 7, v88
	v_lshrrev_b32_e32 v0, 4, v0
	v_add_f64 v[42:43], v[8:9], v[42:43]
	v_add_f64 v[8:9], v[8:9], -v[4:5]
	v_mul_f64 v[44:45], v[44:45], s[4:5]
	v_mul_f64 v[46:47], v[46:47], s[10:11]
	;; [unrolled: 1-line block ×3, first 2 shown]
	v_add_f64 v[6:7], v[6:7], v[40:41]
	v_mul_lo_u32 v0, v0, 23
	v_sub_nc_u32_e32 v1, v1, v0
	v_mad_u32_u24 v0, v88, 56, 0
	v_mul_u32_u24_e32 v1, 0x4d, v1
	v_add_f64 v[64:65], v[10:11], v[42:43]
	v_mul_f64 v[4:5], v[8:9], s[14:15]
	v_fma_f64 v[8:9], v[8:9], s[14:15], v[44:45]
	v_fma_f64 v[10:11], v[38:39], s[22:23], v[46:47]
	v_fma_f64 v[40:41], v[48:49], s[6:7], -v[46:47]
	v_fma_f64 v[38:39], v[38:39], s[24:25], -v[50:51]
	;; [unrolled: 1-line block ×3, first 2 shown]
	v_fma_f64 v[42:43], v[42:43], s[16:17], v[64:65]
	v_fma_f64 v[2:3], v[2:3], s[18:19], -v[4:5]
	v_fma_f64 v[4:5], v[6:7], s[26:27], v[10:11]
	v_fma_f64 v[10:11], v[6:7], s[26:27], v[40:41]
	;; [unrolled: 1-line block ×3, first 2 shown]
	v_lshl_add_u32 v40, v1, 3, v0
	v_add_f64 v[8:9], v[8:9], v[42:43]
	v_add_f64 v[38:39], v[44:45], v[42:43]
	;; [unrolled: 1-line block ×5, first 2 shown]
	v_add_f64 v[72:73], v[2:3], -v[10:11]
	v_add_f64 v[74:75], v[10:11], v[2:3]
	v_add_f64 v[66:67], v[38:39], -v[6:7]
	v_add_f64 v[2:3], v[8:9], -v[4:5]
	v_lshlrev_b32_e32 v38, 3, v88
	v_lshlrev_b32_e32 v39, 3, v1
                                        ; implicit-def: $vgpr6_vgpr7
                                        ; implicit-def: $vgpr10_vgpr11
	ds_write2_b64 v40, v[64:65], v[70:71] offset1:1
	ds_write2_b64 v40, v[68:69], v[72:73] offset0:2 offset1:3
	ds_write2_b64 v40, v[74:75], v[66:67] offset0:4 offset1:5
	ds_write_b64 v40, v[2:3] offset:48
	s_waitcnt lgkmcnt(0)
	s_barrier
	buffer_gl0_inv
	s_and_saveexec_b32 s1, s0
	s_cbranch_execz .LBB0_12
; %bb.11:
	v_mul_i32_i24_e32 v1, 0xffffffd0, v88
	v_add3_u32 v5, 0, v39, v38
	v_add3_u32 v4, v0, v1, v39
	ds_read2_b64 v[0:3], v4 offset0:35 offset1:42
	ds_read2_b64 v[41:44], v4 offset0:21 offset1:28
	;; [unrolled: 1-line block ×3, first 2 shown]
	ds_read_b64 v[64:65], v5
	ds_read2_b64 v[8:11], v4 offset0:49 offset1:56
	ds_read2_b64 v[4:7], v4 offset0:63 offset1:70
	s_waitcnt lgkmcnt(3)
	v_mov_b32_e32 v69, v48
	v_mov_b32_e32 v67, v1
	;; [unrolled: 1-line block ×10, first 2 shown]
.LBB0_12:
	s_or_b32 exec_lo, exec_lo, s1
	v_add_f64 v[16:17], v[20:21], v[16:17]
	v_add_f64 v[20:21], v[32:33], v[36:37]
	v_add_f64 v[0:1], v[34:35], -v[30:31]
	v_add_f64 v[24:25], v[24:25], v[28:29]
	v_add_f64 v[22:23], v[22:23], -v[26:27]
	v_add_f64 v[14:15], v[14:15], -v[18:19]
	s_waitcnt lgkmcnt(0)
	s_barrier
	buffer_gl0_inv
	v_add_f64 v[18:19], v[20:21], v[16:17]
	v_add_f64 v[26:27], v[16:17], -v[24:25]
	v_add_f64 v[28:29], v[22:23], -v[0:1]
	v_add_f64 v[30:31], v[0:1], -v[14:15]
	v_add_f64 v[32:33], v[22:23], v[0:1]
	v_add_f64 v[22:23], v[14:15], -v[22:23]
	v_add_f64 v[18:19], v[24:25], v[18:19]
	v_add_f64 v[24:25], v[24:25], -v[20:21]
	v_mul_f64 v[26:27], v[26:27], s[4:5]
	v_mul_f64 v[28:29], v[28:29], s[10:11]
	v_mul_f64 v[34:35], v[30:31], s[6:7]
	v_add_f64 v[14:15], v[32:33], v[14:15]
	v_add_f64 v[0:1], v[12:13], v[18:19]
	v_add_f64 v[12:13], v[20:21], -v[16:17]
	v_mul_f64 v[16:17], v[24:25], s[14:15]
	v_fma_f64 v[20:21], v[24:25], s[14:15], v[26:27]
	v_fma_f64 v[24:25], v[22:23], s[22:23], v[28:29]
	v_fma_f64 v[28:29], v[30:31], s[6:7], -v[28:29]
	v_fma_f64 v[22:23], v[22:23], s[24:25], -v[34:35]
	v_fma_f64 v[18:19], v[18:19], s[16:17], v[0:1]
	v_fma_f64 v[26:27], v[12:13], s[20:21], -v[26:27]
	v_fma_f64 v[12:13], v[12:13], s[18:19], -v[16:17]
	v_fma_f64 v[16:17], v[14:15], s[26:27], v[24:25]
	v_fma_f64 v[24:25], v[14:15], s[26:27], v[28:29]
	;; [unrolled: 1-line block ×3, first 2 shown]
	v_add_f64 v[20:21], v[20:21], v[18:19]
	v_add_f64 v[22:23], v[26:27], v[18:19]
	;; [unrolled: 1-line block ×3, first 2 shown]
                                        ; implicit-def: $vgpr18_vgpr19
	v_add_f64 v[78:79], v[20:21], -v[16:17]
	v_add_f64 v[76:77], v[22:23], -v[14:15]
	v_add_f64 v[82:83], v[24:25], v[12:13]
	v_add_f64 v[80:81], v[12:13], -v[24:25]
	v_add_f64 v[12:13], v[14:15], v[22:23]
	v_add_f64 v[14:15], v[16:17], v[20:21]
                                        ; implicit-def: $vgpr22_vgpr23
	ds_write2_b64 v40, v[0:1], v[78:79] offset1:1
	ds_write2_b64 v40, v[76:77], v[82:83] offset0:2 offset1:3
	ds_write2_b64 v40, v[80:81], v[12:13] offset0:4 offset1:5
	ds_write_b64 v40, v[14:15] offset:48
	s_waitcnt lgkmcnt(0)
	s_barrier
	buffer_gl0_inv
	s_and_saveexec_b32 s1, s0
	s_cbranch_execnz .LBB0_15
; %bb.13:
	s_or_b32 exec_lo, exec_lo, s1
	s_and_b32 s0, vcc_lo, s0
	s_and_saveexec_b32 s1, s0
	s_cbranch_execnz .LBB0_16
.LBB0_14:
	s_endpgm
.LBB0_15:
	v_add3_u32 v16, 0, v38, v39
	v_add3_u32 v0, 0, v39, v38
	ds_read2_b64 v[12:15], v16 offset0:35 offset1:42
	ds_read2_b64 v[24:27], v16 offset0:21 offset1:28
	;; [unrolled: 1-line block ×3, first 2 shown]
	ds_read_b64 v[0:1], v0
	ds_read2_b64 v[20:23], v16 offset0:49 offset1:56
	ds_read2_b64 v[16:19], v16 offset0:63 offset1:70
	s_waitcnt lgkmcnt(3)
	v_mov_b32_e32 v77, v31
	v_mov_b32_e32 v79, v29
	;; [unrolled: 1-line block ×8, first 2 shown]
	s_or_b32 exec_lo, exec_lo, s1
	s_and_b32 s0, vcc_lo, s0
	s_and_saveexec_b32 s1, s0
	s_cbranch_execz .LBB0_14
.LBB0_16:
	v_mul_u32_u24_e32 v24, 10, v88
	v_mad_u64_u32 v[86:87], null, s2, v88, 0
	v_add_nc_u32_e32 v110, 7, v88
	v_add_nc_u32_e32 v112, 14, v88
	v_lshlrev_b32_e32 v60, 4, v24
	v_add_nc_u32_e32 v113, 21, v88
	v_add_nc_u32_e32 v114, 28, v88
	;; [unrolled: 1-line block ×4, first 2 shown]
	s_clause 0x9
	global_load_dwordx4 v[24:27], v60, s[8:9] offset:48
	global_load_dwordx4 v[32:35], v60, s[8:9] offset:32
	;; [unrolled: 1-line block ×4, first 2 shown]
	global_load_dwordx4 v[52:55], v60, s[8:9]
	global_load_dwordx4 v[48:51], v60, s[8:9] offset:16
	global_load_dwordx4 v[44:47], v60, s[8:9] offset:64
	global_load_dwordx4 v[40:43], v60, s[8:9] offset:80
	global_load_dwordx4 v[56:59], v60, s[8:9] offset:128
	global_load_dwordx4 v[60:63], v60, s[8:9] offset:144
	v_mad_u64_u32 v[90:91], null, s2, v110, 0
	v_add_co_u32 v89, vcc_lo, s12, v84
	v_add_nc_u32_e32 v117, 49, v88
	v_mad_u64_u32 v[92:93], null, s2, v112, 0
	v_mad_u64_u32 v[94:95], null, s2, v113, 0
	v_add_co_ci_u32_e32 v84, vcc_lo, s13, v85, vcc_lo
	v_mad_u64_u32 v[96:97], null, s2, v114, 0
	v_mov_b32_e32 v85, v87
	v_mad_u64_u32 v[98:99], null, s2, v115, 0
	v_mad_u64_u32 v[100:101], null, s2, v116, 0
	v_or_b32_e32 v118, 56, v88
	v_mad_u64_u32 v[102:103], null, s2, v117, 0
	v_add_nc_u32_e32 v119, 63, v88
	v_add_nc_u32_e32 v120, 0x46, v88
	v_mad_u64_u32 v[87:88], null, s3, v88, v[85:86]
	v_mov_b32_e32 v85, v91
	v_mov_b32_e32 v88, v93
	;; [unrolled: 1-line block ×3, first 2 shown]
	v_mad_u64_u32 v[104:105], null, s2, v118, 0
	v_mov_b32_e32 v93, v97
	v_mov_b32_e32 v95, v99
	;; [unrolled: 1-line block ×3, first 2 shown]
	v_mad_u64_u32 v[110:111], null, s3, v110, v[85:86]
	v_mov_b32_e32 v99, v103
	v_mad_u64_u32 v[111:112], null, s3, v112, v[88:89]
	v_mad_u64_u32 v[112:113], null, s3, v113, v[91:92]
	;; [unrolled: 1-line block ×7, first 2 shown]
	v_mov_b32_e32 v101, v105
	v_mad_u64_u32 v[116:117], null, s3, v117, v[99:100]
	v_mov_b32_e32 v85, v107
	v_mov_b32_e32 v91, v110
	v_mad_u64_u32 v[117:118], null, s3, v118, v[101:102]
	v_mov_b32_e32 v88, v109
	v_mov_b32_e32 v93, v111
	;; [unrolled: 1-line block ×7, first 2 shown]
	v_mad_u64_u32 v[118:119], null, s3, v119, v[85:86]
	v_mad_u64_u32 v[119:120], null, s3, v120, v[88:89]
	v_lshlrev_b64 v[85:86], 4, v[86:87]
	v_mov_b32_e32 v105, v117
	v_lshlrev_b64 v[87:88], 4, v[90:91]
	v_lshlrev_b64 v[90:91], 4, v[92:93]
	;; [unrolled: 1-line block ×7, first 2 shown]
	v_mov_b32_e32 v107, v118
	v_mov_b32_e32 v109, v119
	v_add_co_u32 v85, vcc_lo, v89, v85
	v_add_co_ci_u32_e32 v86, vcc_lo, v84, v86, vcc_lo
	v_add_co_u32 v87, vcc_lo, v89, v87
	v_add_co_ci_u32_e32 v88, vcc_lo, v84, v88, vcc_lo
	;; [unrolled: 2-line block ×4, first 2 shown]
	s_mov_b32 s6, 0xfd768dbf
	s_mov_b32 s4, 0xf8bb580b
	;; [unrolled: 1-line block ×26, first 2 shown]
	s_waitcnt vmcnt(9)
	v_mul_f64 v[102:103], v[80:81], v[26:27]
	s_waitcnt vmcnt(8)
	v_mul_f64 v[110:111], v[82:83], v[34:35]
	v_mul_f64 v[34:35], v[72:73], v[34:35]
	s_waitcnt vmcnt(7) lgkmcnt(1)
	v_mul_f64 v[112:113], v[20:21], v[30:31]
	s_waitcnt vmcnt(6)
	v_mul_f64 v[114:115], v[22:23], v[38:39]
	v_mul_f64 v[38:39], v[10:11], v[38:39]
	s_waitcnt vmcnt(5)
	v_mul_f64 v[116:117], v[78:79], v[54:55]
	v_mul_f64 v[54:55], v[70:71], v[54:55]
	;; [unrolled: 1-line block ×4, first 2 shown]
	s_waitcnt vmcnt(4)
	v_mul_f64 v[118:119], v[76:77], v[50:51]
	v_mul_f64 v[50:51], v[68:69], v[50:51]
	v_fma_f64 v[74:75], v[74:75], v[24:25], v[102:103]
	v_fma_f64 v[72:73], v[72:73], v[32:33], v[110:111]
	v_fma_f64 v[32:33], v[82:83], v[32:33], -v[34:35]
	v_fma_f64 v[8:9], v[8:9], v[28:29], v[112:113]
	v_fma_f64 v[10:11], v[10:11], v[36:37], v[114:115]
	v_fma_f64 v[22:23], v[22:23], v[36:37], -v[38:39]
	v_fma_f64 v[36:37], v[70:71], v[52:53], v[116:117]
	v_fma_f64 v[34:35], v[78:79], v[52:53], -v[54:55]
	v_fma_f64 v[24:25], v[80:81], v[24:25], -v[26:27]
	;; [unrolled: 1-line block ×3, first 2 shown]
	s_waitcnt vmcnt(3)
	v_mul_f64 v[26:27], v[12:13], v[46:47]
	v_mul_f64 v[28:29], v[66:67], v[46:47]
	s_waitcnt vmcnt(2)
	v_mul_f64 v[30:31], v[14:15], v[42:43]
	v_mul_f64 v[38:39], v[2:3], v[42:43]
	s_waitcnt vmcnt(1) lgkmcnt(0)
	v_mul_f64 v[42:43], v[16:17], v[58:59]
	v_mul_f64 v[46:47], v[4:5], v[58:59]
	s_waitcnt vmcnt(0)
	v_mul_f64 v[58:59], v[18:19], v[62:63]
	v_mul_f64 v[62:63], v[6:7], v[62:63]
	v_fma_f64 v[68:69], v[68:69], v[48:49], v[118:119]
	v_fma_f64 v[48:49], v[76:77], v[48:49], -v[50:51]
	v_add_co_u32 v52, vcc_lo, v89, v94
	v_add_co_ci_u32_e32 v53, vcc_lo, v84, v95, vcc_lo
	v_add_co_u32 v54, vcc_lo, v89, v96
	v_add_f64 v[76:77], v[74:75], -v[8:9]
	v_add_f64 v[78:79], v[72:73], -v[10:11]
	v_add_f64 v[70:71], v[64:65], v[36:37]
	v_add_f64 v[50:51], v[0:1], v[34:35]
	v_add_f64 v[80:81], v[32:33], -v[22:23]
	v_add_co_ci_u32_e32 v55, vcc_lo, v84, v97, vcc_lo
	v_add_co_u32 v82, vcc_lo, v89, v98
	v_add_co_ci_u32_e32 v83, vcc_lo, v84, v99, vcc_lo
	v_add_co_u32 v96, vcc_lo, v89, v100
	v_add_f64 v[94:95], v[24:25], -v[20:21]
	v_add_co_ci_u32_e32 v97, vcc_lo, v84, v101, vcc_lo
	v_fma_f64 v[26:27], v[66:67], v[44:45], v[26:27]
	v_fma_f64 v[12:13], v[12:13], v[44:45], -v[28:29]
	v_fma_f64 v[2:3], v[2:3], v[40:41], v[30:31]
	v_fma_f64 v[14:15], v[14:15], v[40:41], -v[38:39]
	;; [unrolled: 2-line block ×3, first 2 shown]
	v_fma_f64 v[28:29], v[6:7], v[60:61], v[58:59]
	v_add_f64 v[6:7], v[24:25], v[20:21]
	v_add_f64 v[30:31], v[32:33], v[22:23]
	v_add_f64 v[38:39], v[72:73], v[10:11]
	v_add_f64 v[40:41], v[48:49], v[50:51]
	v_add_f64 v[42:43], v[68:69], v[70:71]
	v_mul_f64 v[44:45], v[78:79], s[12:13]
	v_mul_f64 v[46:47], v[80:81], s[12:13]
	;; [unrolled: 1-line block ×3, first 2 shown]
	v_fma_f64 v[56:57], v[18:19], v[60:61], -v[62:63]
	v_mul_f64 v[60:61], v[78:79], s[24:25]
	v_mul_f64 v[62:63], v[80:81], s[24:25]
	;; [unrolled: 1-line block ×12, first 2 shown]
	v_add_f64 v[18:19], v[74:75], v[8:9]
	v_mul_f64 v[58:59], v[94:95], s[16:17]
	v_mul_f64 v[70:71], v[94:95], s[6:7]
	;; [unrolled: 1-line block ×3, first 2 shown]
	v_add_f64 v[32:33], v[32:33], v[40:41]
	v_add_f64 v[40:41], v[72:73], v[42:43]
	v_fma_f64 v[42:43], v[30:31], s[10:11], v[44:45]
	v_fma_f64 v[72:73], v[38:39], s[10:11], -v[46:47]
	v_fma_f64 v[118:119], v[6:7], s[14:15], v[50:51]
	v_fma_f64 v[44:45], v[30:31], s[10:11], -v[44:45]
	;; [unrolled: 2-line block ×13, first 2 shown]
	v_fma_f64 v[78:79], v[38:39], s[0:1], -v[116:117]
	v_fma_f64 v[116:117], v[38:39], s[0:1], v[116:117]
	v_fma_f64 v[138:139], v[38:39], s[18:19], -v[80:81]
	v_fma_f64 v[38:39], v[38:39], s[18:19], v[80:81]
	v_mul_f64 v[80:81], v[94:95], s[20:21]
	v_mul_f64 v[94:95], v[94:95], s[12:13]
	v_fma_f64 v[140:141], v[18:19], s[14:15], -v[58:59]
	v_fma_f64 v[58:59], v[18:19], s[14:15], v[58:59]
	v_fma_f64 v[142:143], v[18:19], s[0:1], -v[70:71]
	v_fma_f64 v[70:71], v[18:19], s[0:1], v[70:71]
	;; [unrolled: 2-line block ×3, first 2 shown]
	v_add_f64 v[158:159], v[12:13], v[14:15]
	v_add_f64 v[178:179], v[26:27], v[2:3]
	;; [unrolled: 1-line block ×3, first 2 shown]
	v_add_f64 v[34:35], v[34:35], -v[56:57]
	v_add_f64 v[24:25], v[24:25], v[32:33]
	v_add_f64 v[32:33], v[74:75], v[40:41]
	;; [unrolled: 1-line block ×3, first 2 shown]
	v_fma_f64 v[146:147], v[18:19], s[18:19], -v[80:81]
	v_fma_f64 v[80:81], v[18:19], s[18:19], v[80:81]
	v_fma_f64 v[148:149], v[18:19], s[10:11], -v[94:95]
	v_fma_f64 v[18:19], v[18:19], s[10:11], v[94:95]
	v_add_f64 v[94:95], v[26:27], -v[2:3]
	v_mul_f64 v[210:211], v[34:35], s[12:13]
	v_mul_f64 v[212:213], v[34:35], s[22:23]
	v_mul_f64 v[214:215], v[34:35], s[24:25]
	v_mul_f64 v[150:151], v[94:95], s[22:23]
	v_mul_f64 v[152:153], v[94:95], s[16:17]
	v_mul_f64 v[154:155], v[94:95], s[12:13]
	v_mul_f64 v[156:157], v[94:95], s[4:5]
	v_mul_f64 v[94:95], v[94:95], s[6:7]
	v_fma_f64 v[160:161], v[158:159], s[18:19], v[150:151]
	v_fma_f64 v[150:151], v[158:159], s[18:19], -v[150:151]
	v_fma_f64 v[162:163], v[158:159], s[14:15], v[152:153]
	v_fma_f64 v[152:153], v[158:159], s[14:15], -v[152:153]
	;; [unrolled: 2-line block ×5, first 2 shown]
	v_add_f64 v[158:159], v[12:13], -v[14:15]
	v_add_f64 v[12:13], v[12:13], v[24:25]
	v_add_f64 v[24:25], v[26:27], v[32:33]
	v_add_f64 v[26:27], v[48:49], -v[16:17]
	v_add_f64 v[32:33], v[68:69], v[4:5]
	v_mul_f64 v[170:171], v[158:159], s[22:23]
	v_mul_f64 v[172:173], v[158:159], s[16:17]
	;; [unrolled: 1-line block ×5, first 2 shown]
	s_mov_b32 s17, 0xbfed1bb4
	v_mul_f64 v[48:49], v[26:27], s[4:5]
	v_mul_f64 v[242:243], v[26:27], s[12:13]
	v_add_f64 v[12:13], v[14:15], v[12:13]
	v_add_f64 v[2:3], v[2:3], v[24:25]
	v_fma_f64 v[180:181], v[178:179], s[18:19], -v[170:171]
	v_fma_f64 v[170:171], v[178:179], s[18:19], v[170:171]
	v_fma_f64 v[182:183], v[178:179], s[14:15], -v[172:173]
	v_fma_f64 v[172:173], v[178:179], s[14:15], v[172:173]
	;; [unrolled: 2-line block ×5, first 2 shown]
	v_add_f64 v[178:179], v[36:37], -v[28:29]
	v_add_f64 v[36:37], v[36:37], v[28:29]
	v_fma_f64 v[244:245], v[32:33], s[8:9], -v[48:49]
	v_fma_f64 v[48:49], v[32:33], s[8:9], v[48:49]
	v_fma_f64 v[250:251], v[32:33], s[10:11], -v[242:243]
	v_fma_f64 v[242:243], v[32:33], s[10:11], v[242:243]
	v_add_f64 v[12:13], v[20:21], v[12:13]
	v_add_f64 v[2:3], v[8:9], v[2:3]
	v_mul_f64 v[190:191], v[178:179], s[6:7]
	v_mul_f64 v[192:193], v[178:179], s[12:13]
	;; [unrolled: 1-line block ×5, first 2 shown]
	v_fma_f64 v[218:219], v[36:37], s[10:11], -v[210:211]
	v_fma_f64 v[210:211], v[36:37], s[10:11], v[210:211]
	v_fma_f64 v[220:221], v[36:37], s[18:19], -v[212:213]
	v_fma_f64 v[212:213], v[36:37], s[18:19], v[212:213]
	;; [unrolled: 2-line block ×3, first 2 shown]
	v_add_f64 v[12:13], v[22:23], v[12:13]
	v_add_f64 v[2:3], v[10:11], v[2:3]
	v_fma_f64 v[200:201], v[198:199], s[0:1], v[190:191]
	v_fma_f64 v[190:191], v[198:199], s[0:1], -v[190:191]
	v_fma_f64 v[202:203], v[198:199], s[10:11], v[192:193]
	v_fma_f64 v[192:193], v[198:199], s[10:11], -v[192:193]
	v_fma_f64 v[204:205], v[198:199], s[18:19], v[194:195]
	v_fma_f64 v[194:195], v[198:199], s[18:19], -v[194:195]
	v_fma_f64 v[206:207], v[198:199], s[8:9], v[196:197]
	v_fma_f64 v[196:197], v[198:199], s[8:9], -v[196:197]
	v_fma_f64 v[208:209], v[198:199], s[14:15], v[178:179]
	v_fma_f64 v[178:179], v[198:199], s[14:15], -v[178:179]
	v_mul_f64 v[198:199], v[34:35], s[6:7]
	v_mul_f64 v[34:35], v[34:35], s[16:17]
	v_add_f64 v[16:17], v[16:17], v[12:13]
	v_add_f64 v[190:191], v[0:1], v[190:191]
	;; [unrolled: 1-line block ×5, first 2 shown]
	v_fma_f64 v[216:217], v[36:37], s[0:1], -v[198:199]
	v_fma_f64 v[198:199], v[36:37], s[0:1], v[198:199]
	v_fma_f64 v[224:225], v[36:37], s[14:15], -v[34:35]
	v_fma_f64 v[34:35], v[36:37], s[14:15], v[34:35]
	v_add_f64 v[36:37], v[68:69], -v[4:5]
	v_mul_f64 v[68:69], v[26:27], s[20:21]
	v_add_f64 v[14:15], v[64:65], v[216:217]
	v_add_f64 v[24:25], v[64:65], v[198:199]
	;; [unrolled: 1-line block ×4, first 2 shown]
	v_mul_f64 v[40:41], v[36:37], s[4:5]
	v_mul_f64 v[74:75], v[36:37], s[20:21]
	;; [unrolled: 1-line block ×5, first 2 shown]
	v_add_f64 v[212:213], v[64:65], v[214:215]
	v_fma_f64 v[246:247], v[32:33], s[18:19], -v[68:69]
	v_fma_f64 v[68:69], v[32:33], s[18:19], v[68:69]
	v_add_f64 v[34:35], v[64:65], v[34:35]
	v_add_f64 v[214:215], v[64:65], v[222:223]
	;; [unrolled: 1-line block ×4, first 2 shown]
	v_fma_f64 v[232:233], v[230:231], s[8:9], v[40:41]
	v_fma_f64 v[40:41], v[230:231], s[8:9], -v[40:41]
	v_fma_f64 v[234:235], v[230:231], s[18:19], v[74:75]
	v_fma_f64 v[74:75], v[230:231], s[18:19], -v[74:75]
	;; [unrolled: 2-line block ×5, first 2 shown]
	v_mul_f64 v[230:231], v[26:27], s[26:27]
	v_mul_f64 v[26:27], v[26:27], s[16:17]
	v_add_f64 v[68:69], v[68:69], v[198:199]
	v_add_f64 v[8:9], v[242:243], v[34:35]
	;; [unrolled: 1-line block ×8, first 2 shown]
	v_fma_f64 v[248:249], v[32:33], s[0:1], -v[230:231]
	v_fma_f64 v[252:253], v[32:33], s[14:15], -v[26:27]
	v_fma_f64 v[26:27], v[32:33], s[14:15], v[26:27]
	v_fma_f64 v[230:231], v[32:33], s[0:1], v[230:231]
	v_add_f64 v[32:33], v[0:1], v[200:201]
	v_add_f64 v[200:201], v[0:1], v[202:203]
	;; [unrolled: 1-line block ×28, first 2 shown]
	v_lshlrev_b64 v[50:51], 4, v[108:109]
	v_add_f64 v[30:31], v[6:7], v[30:31]
	v_add_f64 v[26:27], v[38:39], v[26:27]
	v_add_f64 v[72:73], v[100:101], v[198:199]
	v_add_f64 v[32:33], v[42:43], v[32:33]
	v_add_f64 v[42:43], v[120:121], v[48:49]
	v_add_f64 v[48:49], v[62:63], v[68:69]
	v_add_f64 v[68:69], v[98:99], v[194:195]
	v_add_f64 v[60:61], v[126:127], v[190:191]
	v_add_f64 v[0:1], v[114:115], v[0:1]
	v_add_f64 v[44:45], v[122:123], v[178:179]
	v_add_f64 v[62:63], v[128:129], v[192:193]
	v_add_f64 v[10:11], v[136:137], v[20:21]
	v_add_f64 v[20:21], v[138:139], v[34:35]
	v_add_f64 v[22:23], v[76:77], v[196:197]
	v_add_f64 v[34:35], v[78:79], v[64:65]
	v_add_f64 v[64:65], v[4:5], v[2:3]
	v_add_f64 v[4:5], v[170:171], v[24:25]
	v_add_f64 v[6:7], v[150:151], v[36:37]
	v_add_f64 v[26:27], v[18:19], v[26:27]
	v_add_f64 v[32:33], v[118:119], v[32:33]
	v_add_f64 v[38:39], v[124:125], v[42:43]
	v_add_f64 v[42:43], v[66:67], v[46:47]
	v_add_f64 v[58:59], v[102:103], v[68:69]
	v_add_f64 v[68:69], v[80:81], v[8:9]
	v_add_f64 v[66:67], v[112:113], v[0:1]
	v_add_f64 v[40:41], v[142:143], v[44:45]
	v_add_f64 v[44:45], v[70:71], v[48:49]
	v_add_f64 v[70:71], v[110:111], v[72:73]
	v_add_f64 v[60:61], v[130:131], v[60:61]
	v_add_f64 v[62:63], v[144:145], v[62:63]
	v_add_f64 v[76:77], v[132:133], v[22:23]
	v_add_f64 v[78:79], v[146:147], v[34:35]
	v_add_f64 v[72:73], v[134:135], v[10:11]
	v_add_f64 v[74:75], v[148:149], v[20:21]
	v_add_f64 v[24:25], v[28:29], v[64:65]
	v_add_f64 v[22:23], v[94:95], v[30:31]
	v_add_f64 v[0:1], v[180:181], v[14:15]
	v_lshlrev_b64 v[46:47], 4, v[104:105]
	v_lshlrev_b64 v[48:49], 4, v[106:107]
	v_add_f64 v[20:21], v[176:177], v[26:27]
	v_add_f64 v[26:27], v[56:57], v[16:17]
	;; [unrolled: 1-line block ×17, first 2 shown]
	v_add_co_u32 v44, vcc_lo, v89, v46
	v_add_co_ci_u32_e32 v45, vcc_lo, v84, v47, vcc_lo
	v_add_co_u32 v46, vcc_lo, v89, v48
	v_add_co_ci_u32_e32 v47, vcc_lo, v84, v49, vcc_lo
	;; [unrolled: 2-line block ×3, first 2 shown]
	global_store_dwordx4 v[85:86], v[24:27], off
	global_store_dwordx4 v[87:88], v[20:23], off
	;; [unrolled: 1-line block ×11, first 2 shown]
	s_endpgm
	.section	.rodata,"a",@progbits
	.p2align	6, 0x0
	.amdhsa_kernel fft_rtc_back_len77_factors_7_11_wgs_253_tpt_11_halfLds_dp_ip_CI_sbrr_dirReg
		.amdhsa_group_segment_fixed_size 0
		.amdhsa_private_segment_fixed_size 0
		.amdhsa_kernarg_size 88
		.amdhsa_user_sgpr_count 6
		.amdhsa_user_sgpr_private_segment_buffer 1
		.amdhsa_user_sgpr_dispatch_ptr 0
		.amdhsa_user_sgpr_queue_ptr 0
		.amdhsa_user_sgpr_kernarg_segment_ptr 1
		.amdhsa_user_sgpr_dispatch_id 0
		.amdhsa_user_sgpr_flat_scratch_init 0
		.amdhsa_user_sgpr_private_segment_size 0
		.amdhsa_wavefront_size32 1
		.amdhsa_uses_dynamic_stack 0
		.amdhsa_system_sgpr_private_segment_wavefront_offset 0
		.amdhsa_system_sgpr_workgroup_id_x 1
		.amdhsa_system_sgpr_workgroup_id_y 0
		.amdhsa_system_sgpr_workgroup_id_z 0
		.amdhsa_system_sgpr_workgroup_info 0
		.amdhsa_system_vgpr_workitem_id 0
		.amdhsa_next_free_vgpr 254
		.amdhsa_next_free_sgpr 28
		.amdhsa_reserve_vcc 1
		.amdhsa_reserve_flat_scratch 0
		.amdhsa_float_round_mode_32 0
		.amdhsa_float_round_mode_16_64 0
		.amdhsa_float_denorm_mode_32 3
		.amdhsa_float_denorm_mode_16_64 3
		.amdhsa_dx10_clamp 1
		.amdhsa_ieee_mode 1
		.amdhsa_fp16_overflow 0
		.amdhsa_workgroup_processor_mode 1
		.amdhsa_memory_ordered 1
		.amdhsa_forward_progress 0
		.amdhsa_shared_vgpr_count 0
		.amdhsa_exception_fp_ieee_invalid_op 0
		.amdhsa_exception_fp_denorm_src 0
		.amdhsa_exception_fp_ieee_div_zero 0
		.amdhsa_exception_fp_ieee_overflow 0
		.amdhsa_exception_fp_ieee_underflow 0
		.amdhsa_exception_fp_ieee_inexact 0
		.amdhsa_exception_int_div_zero 0
	.end_amdhsa_kernel
	.text
.Lfunc_end0:
	.size	fft_rtc_back_len77_factors_7_11_wgs_253_tpt_11_halfLds_dp_ip_CI_sbrr_dirReg, .Lfunc_end0-fft_rtc_back_len77_factors_7_11_wgs_253_tpt_11_halfLds_dp_ip_CI_sbrr_dirReg
                                        ; -- End function
	.section	.AMDGPU.csdata,"",@progbits
; Kernel info:
; codeLenInByte = 6456
; NumSgprs: 30
; NumVgprs: 254
; ScratchSize: 0
; MemoryBound: 1
; FloatMode: 240
; IeeeMode: 1
; LDSByteSize: 0 bytes/workgroup (compile time only)
; SGPRBlocks: 3
; VGPRBlocks: 31
; NumSGPRsForWavesPerEU: 30
; NumVGPRsForWavesPerEU: 254
; Occupancy: 4
; WaveLimiterHint : 1
; COMPUTE_PGM_RSRC2:SCRATCH_EN: 0
; COMPUTE_PGM_RSRC2:USER_SGPR: 6
; COMPUTE_PGM_RSRC2:TRAP_HANDLER: 0
; COMPUTE_PGM_RSRC2:TGID_X_EN: 1
; COMPUTE_PGM_RSRC2:TGID_Y_EN: 0
; COMPUTE_PGM_RSRC2:TGID_Z_EN: 0
; COMPUTE_PGM_RSRC2:TIDIG_COMP_CNT: 0
	.text
	.p2alignl 6, 3214868480
	.fill 48, 4, 3214868480
	.type	__hip_cuid_12b9bb4a37ace9cc,@object ; @__hip_cuid_12b9bb4a37ace9cc
	.section	.bss,"aw",@nobits
	.globl	__hip_cuid_12b9bb4a37ace9cc
__hip_cuid_12b9bb4a37ace9cc:
	.byte	0                               ; 0x0
	.size	__hip_cuid_12b9bb4a37ace9cc, 1

	.ident	"AMD clang version 19.0.0git (https://github.com/RadeonOpenCompute/llvm-project roc-6.4.0 25133 c7fe45cf4b819c5991fe208aaa96edf142730f1d)"
	.section	".note.GNU-stack","",@progbits
	.addrsig
	.addrsig_sym __hip_cuid_12b9bb4a37ace9cc
	.amdgpu_metadata
---
amdhsa.kernels:
  - .args:
      - .actual_access:  read_only
        .address_space:  global
        .offset:         0
        .size:           8
        .value_kind:     global_buffer
      - .offset:         8
        .size:           8
        .value_kind:     by_value
      - .actual_access:  read_only
        .address_space:  global
        .offset:         16
        .size:           8
        .value_kind:     global_buffer
      - .actual_access:  read_only
        .address_space:  global
        .offset:         24
        .size:           8
        .value_kind:     global_buffer
      - .offset:         32
        .size:           8
        .value_kind:     by_value
      - .actual_access:  read_only
        .address_space:  global
        .offset:         40
        .size:           8
        .value_kind:     global_buffer
      - .actual_access:  read_only
        .address_space:  global
        .offset:         48
        .size:           8
        .value_kind:     global_buffer
      - .offset:         56
        .size:           4
        .value_kind:     by_value
      - .actual_access:  read_only
        .address_space:  global
        .offset:         64
        .size:           8
        .value_kind:     global_buffer
      - .actual_access:  read_only
        .address_space:  global
        .offset:         72
        .size:           8
        .value_kind:     global_buffer
      - .address_space:  global
        .offset:         80
        .size:           8
        .value_kind:     global_buffer
    .group_segment_fixed_size: 0
    .kernarg_segment_align: 8
    .kernarg_segment_size: 88
    .language:       OpenCL C
    .language_version:
      - 2
      - 0
    .max_flat_workgroup_size: 253
    .name:           fft_rtc_back_len77_factors_7_11_wgs_253_tpt_11_halfLds_dp_ip_CI_sbrr_dirReg
    .private_segment_fixed_size: 0
    .sgpr_count:     30
    .sgpr_spill_count: 0
    .symbol:         fft_rtc_back_len77_factors_7_11_wgs_253_tpt_11_halfLds_dp_ip_CI_sbrr_dirReg.kd
    .uniform_work_group_size: 1
    .uses_dynamic_stack: false
    .vgpr_count:     254
    .vgpr_spill_count: 0
    .wavefront_size: 32
    .workgroup_processor_mode: 1
amdhsa.target:   amdgcn-amd-amdhsa--gfx1030
amdhsa.version:
  - 1
  - 2
...

	.end_amdgpu_metadata
